;; amdgpu-corpus repo=ROCm/rocFFT kind=compiled arch=gfx906 opt=O3
	.text
	.amdgcn_target "amdgcn-amd-amdhsa--gfx906"
	.amdhsa_code_object_version 6
	.protected	fft_rtc_fwd_len84_factors_7_2_6_wgs_120_tpt_12_halfLds_sp_ip_CI_unitstride_sbrr_R2C_dirReg ; -- Begin function fft_rtc_fwd_len84_factors_7_2_6_wgs_120_tpt_12_halfLds_sp_ip_CI_unitstride_sbrr_R2C_dirReg
	.globl	fft_rtc_fwd_len84_factors_7_2_6_wgs_120_tpt_12_halfLds_sp_ip_CI_unitstride_sbrr_R2C_dirReg
	.p2align	8
	.type	fft_rtc_fwd_len84_factors_7_2_6_wgs_120_tpt_12_halfLds_sp_ip_CI_unitstride_sbrr_R2C_dirReg,@function
fft_rtc_fwd_len84_factors_7_2_6_wgs_120_tpt_12_halfLds_sp_ip_CI_unitstride_sbrr_R2C_dirReg: ; @fft_rtc_fwd_len84_factors_7_2_6_wgs_120_tpt_12_halfLds_sp_ip_CI_unitstride_sbrr_R2C_dirReg
; %bb.0:
	s_load_dwordx2 s[12:13], s[4:5], 0x50
	s_load_dwordx4 s[8:11], s[4:5], 0x0
	s_load_dwordx2 s[2:3], s[4:5], 0x18
	v_mul_u32_u24_e32 v1, 0x1556, v0
	v_lshrrev_b32_e32 v1, 16, v1
	v_mad_u64_u32 v[1:2], s[0:1], s6, 10, v[1:2]
	v_mov_b32_e32 v5, 0
	s_waitcnt lgkmcnt(0)
	v_cmp_lt_u64_e64 s[0:1], s[10:11], 2
	v_mov_b32_e32 v2, v5
	v_mov_b32_e32 v3, 0
	;; [unrolled: 1-line block ×3, first 2 shown]
	s_and_b64 vcc, exec, s[0:1]
	v_mov_b32_e32 v4, 0
	v_mov_b32_e32 v9, v1
	s_cbranch_vccnz .LBB0_8
; %bb.1:
	s_load_dwordx2 s[0:1], s[4:5], 0x10
	s_add_u32 s6, s2, 8
	s_addc_u32 s7, s3, 0
	v_mov_b32_e32 v3, 0
	v_mov_b32_e32 v8, v2
	s_waitcnt lgkmcnt(0)
	s_add_u32 s16, s0, 8
	s_mov_b64 s[14:15], 1
	v_mov_b32_e32 v4, 0
	s_addc_u32 s17, s1, 0
	v_mov_b32_e32 v7, v1
.LBB0_2:                                ; =>This Inner Loop Header: Depth=1
	s_load_dwordx2 s[18:19], s[16:17], 0x0
                                        ; implicit-def: $vgpr9_vgpr10
	s_waitcnt lgkmcnt(0)
	v_or_b32_e32 v6, s19, v8
	v_cmp_ne_u64_e32 vcc, 0, v[5:6]
	s_and_saveexec_b64 s[0:1], vcc
	s_xor_b64 s[20:21], exec, s[0:1]
	s_cbranch_execz .LBB0_4
; %bb.3:                                ;   in Loop: Header=BB0_2 Depth=1
	v_cvt_f32_u32_e32 v2, s18
	v_cvt_f32_u32_e32 v6, s19
	s_sub_u32 s0, 0, s18
	s_subb_u32 s1, 0, s19
	v_mac_f32_e32 v2, 0x4f800000, v6
	v_rcp_f32_e32 v2, v2
	v_mul_f32_e32 v2, 0x5f7ffffc, v2
	v_mul_f32_e32 v6, 0x2f800000, v2
	v_trunc_f32_e32 v6, v6
	v_mac_f32_e32 v2, 0xcf800000, v6
	v_cvt_u32_f32_e32 v6, v6
	v_cvt_u32_f32_e32 v2, v2
	v_mul_lo_u32 v9, s0, v6
	v_mul_hi_u32 v10, s0, v2
	v_mul_lo_u32 v12, s1, v2
	v_mul_lo_u32 v11, s0, v2
	v_add_u32_e32 v9, v10, v9
	v_add_u32_e32 v9, v9, v12
	v_mul_hi_u32 v10, v2, v11
	v_mul_lo_u32 v12, v2, v9
	v_mul_hi_u32 v14, v2, v9
	v_mul_hi_u32 v13, v6, v11
	v_mul_lo_u32 v11, v6, v11
	v_mul_hi_u32 v15, v6, v9
	v_add_co_u32_e32 v10, vcc, v10, v12
	v_addc_co_u32_e32 v12, vcc, 0, v14, vcc
	v_mul_lo_u32 v9, v6, v9
	v_add_co_u32_e32 v10, vcc, v10, v11
	v_addc_co_u32_e32 v10, vcc, v12, v13, vcc
	v_addc_co_u32_e32 v11, vcc, 0, v15, vcc
	v_add_co_u32_e32 v9, vcc, v10, v9
	v_addc_co_u32_e32 v10, vcc, 0, v11, vcc
	v_add_co_u32_e32 v2, vcc, v2, v9
	v_addc_co_u32_e32 v6, vcc, v6, v10, vcc
	v_mul_lo_u32 v9, s0, v6
	v_mul_hi_u32 v10, s0, v2
	v_mul_lo_u32 v11, s1, v2
	v_mul_lo_u32 v12, s0, v2
	v_add_u32_e32 v9, v10, v9
	v_add_u32_e32 v9, v9, v11
	v_mul_lo_u32 v13, v2, v9
	v_mul_hi_u32 v14, v2, v12
	v_mul_hi_u32 v15, v2, v9
	;; [unrolled: 1-line block ×3, first 2 shown]
	v_mul_lo_u32 v12, v6, v12
	v_mul_hi_u32 v10, v6, v9
	v_add_co_u32_e32 v13, vcc, v14, v13
	v_addc_co_u32_e32 v14, vcc, 0, v15, vcc
	v_mul_lo_u32 v9, v6, v9
	v_add_co_u32_e32 v12, vcc, v13, v12
	v_addc_co_u32_e32 v11, vcc, v14, v11, vcc
	v_addc_co_u32_e32 v10, vcc, 0, v10, vcc
	v_add_co_u32_e32 v9, vcc, v11, v9
	v_addc_co_u32_e32 v10, vcc, 0, v10, vcc
	v_add_co_u32_e32 v2, vcc, v2, v9
	v_addc_co_u32_e32 v6, vcc, v6, v10, vcc
	v_mad_u64_u32 v[9:10], s[0:1], v7, v6, 0
	v_mul_hi_u32 v11, v7, v2
	v_add_co_u32_e32 v13, vcc, v11, v9
	v_addc_co_u32_e32 v14, vcc, 0, v10, vcc
	v_mad_u64_u32 v[9:10], s[0:1], v8, v2, 0
	v_mad_u64_u32 v[11:12], s[0:1], v8, v6, 0
	v_add_co_u32_e32 v2, vcc, v13, v9
	v_addc_co_u32_e32 v2, vcc, v14, v10, vcc
	v_addc_co_u32_e32 v6, vcc, 0, v12, vcc
	v_add_co_u32_e32 v2, vcc, v2, v11
	v_addc_co_u32_e32 v6, vcc, 0, v6, vcc
	v_mul_lo_u32 v11, s19, v2
	v_mul_lo_u32 v12, s18, v6
	v_mad_u64_u32 v[9:10], s[0:1], s18, v2, 0
	v_add3_u32 v10, v10, v12, v11
	v_sub_u32_e32 v11, v8, v10
	v_mov_b32_e32 v12, s19
	v_sub_co_u32_e32 v9, vcc, v7, v9
	v_subb_co_u32_e64 v11, s[0:1], v11, v12, vcc
	v_subrev_co_u32_e64 v12, s[0:1], s18, v9
	v_subbrev_co_u32_e64 v11, s[0:1], 0, v11, s[0:1]
	v_cmp_le_u32_e64 s[0:1], s19, v11
	v_cndmask_b32_e64 v13, 0, -1, s[0:1]
	v_cmp_le_u32_e64 s[0:1], s18, v12
	v_cndmask_b32_e64 v12, 0, -1, s[0:1]
	v_cmp_eq_u32_e64 s[0:1], s19, v11
	v_cndmask_b32_e64 v11, v13, v12, s[0:1]
	v_add_co_u32_e64 v12, s[0:1], 2, v2
	v_addc_co_u32_e64 v13, s[0:1], 0, v6, s[0:1]
	v_add_co_u32_e64 v14, s[0:1], 1, v2
	v_addc_co_u32_e64 v15, s[0:1], 0, v6, s[0:1]
	v_subb_co_u32_e32 v10, vcc, v8, v10, vcc
	v_cmp_ne_u32_e64 s[0:1], 0, v11
	v_cmp_le_u32_e32 vcc, s19, v10
	v_cndmask_b32_e64 v11, v15, v13, s[0:1]
	v_cndmask_b32_e64 v13, 0, -1, vcc
	v_cmp_le_u32_e32 vcc, s18, v9
	v_cndmask_b32_e64 v9, 0, -1, vcc
	v_cmp_eq_u32_e32 vcc, s19, v10
	v_cndmask_b32_e32 v9, v13, v9, vcc
	v_cmp_ne_u32_e32 vcc, 0, v9
	v_cndmask_b32_e32 v10, v6, v11, vcc
	v_cndmask_b32_e64 v6, v14, v12, s[0:1]
	v_cndmask_b32_e32 v9, v2, v6, vcc
.LBB0_4:                                ;   in Loop: Header=BB0_2 Depth=1
	s_andn2_saveexec_b64 s[0:1], s[20:21]
	s_cbranch_execz .LBB0_6
; %bb.5:                                ;   in Loop: Header=BB0_2 Depth=1
	v_cvt_f32_u32_e32 v2, s18
	s_sub_i32 s20, 0, s18
	v_rcp_iflag_f32_e32 v2, v2
	v_mul_f32_e32 v2, 0x4f7ffffe, v2
	v_cvt_u32_f32_e32 v2, v2
	v_mul_lo_u32 v6, s20, v2
	v_mul_hi_u32 v6, v2, v6
	v_add_u32_e32 v2, v2, v6
	v_mul_hi_u32 v2, v7, v2
	v_mul_lo_u32 v6, v2, s18
	v_add_u32_e32 v9, 1, v2
	v_sub_u32_e32 v6, v7, v6
	v_subrev_u32_e32 v10, s18, v6
	v_cmp_le_u32_e32 vcc, s18, v6
	v_cndmask_b32_e32 v6, v6, v10, vcc
	v_cndmask_b32_e32 v2, v2, v9, vcc
	v_add_u32_e32 v9, 1, v2
	v_cmp_le_u32_e32 vcc, s18, v6
	v_cndmask_b32_e32 v9, v2, v9, vcc
	v_mov_b32_e32 v10, v5
.LBB0_6:                                ;   in Loop: Header=BB0_2 Depth=1
	s_or_b64 exec, exec, s[0:1]
	v_mul_lo_u32 v2, v10, s18
	v_mul_lo_u32 v6, v9, s19
	v_mad_u64_u32 v[11:12], s[0:1], v9, s18, 0
	s_load_dwordx2 s[0:1], s[6:7], 0x0
	s_add_u32 s14, s14, 1
	v_add3_u32 v2, v12, v6, v2
	v_sub_co_u32_e32 v6, vcc, v7, v11
	v_subb_co_u32_e32 v2, vcc, v8, v2, vcc
	s_waitcnt lgkmcnt(0)
	v_mul_lo_u32 v2, s0, v2
	v_mul_lo_u32 v7, s1, v6
	v_mad_u64_u32 v[3:4], s[0:1], s0, v6, v[3:4]
	s_addc_u32 s15, s15, 0
	s_add_u32 s6, s6, 8
	v_add3_u32 v4, v7, v4, v2
	v_mov_b32_e32 v6, s10
	v_mov_b32_e32 v7, s11
	s_addc_u32 s7, s7, 0
	v_cmp_ge_u64_e32 vcc, s[14:15], v[6:7]
	s_add_u32 s16, s16, 8
	s_addc_u32 s17, s17, 0
	s_cbranch_vccnz .LBB0_8
; %bb.7:                                ;   in Loop: Header=BB0_2 Depth=1
	v_mov_b32_e32 v7, v9
	v_mov_b32_e32 v8, v10
	s_branch .LBB0_2
.LBB0_8:
	s_lshl_b64 s[0:1], s[10:11], 3
	s_add_u32 s0, s2, s0
	s_addc_u32 s1, s3, s1
	s_load_dwordx2 s[0:1], s[0:1], 0x0
	s_mov_b32 s2, 0xcccccccd
	v_mul_hi_u32 v5, v1, s2
	s_mov_b32 s2, 0x15555556
	s_waitcnt lgkmcnt(0)
	v_mul_lo_u32 v6, s0, v10
	v_mul_lo_u32 v7, s1, v9
	v_mad_u64_u32 v[2:3], s[0:1], s0, v9, v[3:4]
	v_lshrrev_b32_e32 v4, 3, v5
	s_load_dwordx2 s[0:1], s[4:5], 0x20
	v_mul_lo_u32 v4, v4, 10
	v_mul_hi_u32 v5, v0, s2
	v_add3_u32 v3, v7, v3, v6
	v_sub_u32_e32 v1, v1, v4
	v_mul_u32_u24_e32 v4, 12, v5
	s_waitcnt lgkmcnt(0)
	v_cmp_gt_u64_e32 vcc, s[0:1], v[9:10]
	v_cmp_le_u64_e64 s[0:1], s[0:1], v[9:10]
	v_sub_u32_e32 v16, v0, v4
	v_add_u32_e32 v21, 12, v16
	v_add_u32_e32 v23, 24, v16
	;; [unrolled: 1-line block ×3, first 2 shown]
	s_and_saveexec_b64 s[2:3], s[0:1]
	s_xor_b64 s[0:1], exec, s[2:3]
; %bb.9:
	v_add_u32_e32 v21, 12, v16
	v_add_u32_e32 v23, 24, v16
	;; [unrolled: 1-line block ×3, first 2 shown]
; %bb.10:
	s_or_saveexec_b64 s[2:3], s[0:1]
	v_mul_u32_u24_e32 v0, 0x55, v1
	v_lshlrev_b64 v[18:19], 3, v[2:3]
	v_lshlrev_b32_e32 v26, 3, v0
	v_lshlrev_b32_e32 v22, 3, v16
	s_xor_b64 exec, exec, s[2:3]
	s_cbranch_execz .LBB0_12
; %bb.11:
	v_mov_b32_e32 v17, 0
	v_mov_b32_e32 v0, s13
	v_add_co_u32_e64 v2, s[0:1], s12, v18
	v_addc_co_u32_e64 v3, s[0:1], v0, v19, s[0:1]
	v_lshlrev_b64 v[0:1], 3, v[16:17]
	v_add_co_u32_e64 v0, s[0:1], v2, v0
	v_addc_co_u32_e64 v1, s[0:1], v3, v1, s[0:1]
	global_load_dwordx2 v[2:3], v[0:1], off
	global_load_dwordx2 v[4:5], v[0:1], off offset:96
	global_load_dwordx2 v[6:7], v[0:1], off offset:192
	global_load_dwordx2 v[8:9], v[0:1], off offset:288
	global_load_dwordx2 v[10:11], v[0:1], off offset:384
	global_load_dwordx2 v[12:13], v[0:1], off offset:480
	global_load_dwordx2 v[14:15], v[0:1], off offset:576
	v_add3_u32 v0, 0, v26, v22
	s_waitcnt vmcnt(5)
	ds_write2_b64 v0, v[2:3], v[4:5] offset1:12
	s_waitcnt vmcnt(3)
	ds_write2_b64 v0, v[6:7], v[8:9] offset0:24 offset1:36
	s_waitcnt vmcnt(1)
	ds_write2_b64 v0, v[10:11], v[12:13] offset0:48 offset1:60
	s_waitcnt vmcnt(0)
	ds_write_b64 v0, v[14:15] offset:576
.LBB0_12:
	s_or_b64 exec, exec, s[2:3]
	v_add3_u32 v17, 0, v22, v26
	s_waitcnt lgkmcnt(0)
	s_barrier
	ds_read2_b64 v[0:3], v17 offset0:12 offset1:24
	ds_read2_b64 v[4:7], v17 offset0:60 offset1:72
	;; [unrolled: 1-line block ×3, first 2 shown]
	v_add_u32_e32 v33, 0, v26
	v_add_u32_e32 v32, v33, v22
	s_mov_b32 s0, 0x3f3bfb3b
	s_waitcnt lgkmcnt(1)
	v_add_f32_e32 v12, v0, v6
	v_add_f32_e32 v13, v1, v7
	v_sub_f32_e32 v6, v0, v6
	v_sub_f32_e32 v7, v1, v7
	ds_read_b64 v[0:1], v32
	v_add_f32_e32 v14, v2, v4
	v_add_f32_e32 v15, v3, v5
	v_sub_f32_e32 v2, v2, v4
	v_sub_f32_e32 v3, v3, v5
	s_waitcnt lgkmcnt(1)
	v_add_f32_e32 v4, v8, v10
	v_add_f32_e32 v5, v9, v11
	v_sub_f32_e32 v8, v10, v8
	v_sub_f32_e32 v9, v11, v9
	v_add_f32_e32 v10, v14, v12
	v_add_f32_e32 v11, v15, v13
	;; [unrolled: 1-line block ×4, first 2 shown]
	v_sub_f32_e32 v24, v14, v12
	v_sub_f32_e32 v12, v12, v4
	;; [unrolled: 1-line block ×6, first 2 shown]
	v_add_f32_e32 v15, v8, v2
	s_waitcnt lgkmcnt(0)
	v_add_f32_e32 v0, v0, v10
	v_sub_f32_e32 v25, v8, v2
	v_sub_f32_e32 v8, v6, v8
	;; [unrolled: 1-line block ×3, first 2 shown]
	v_add_f32_e32 v6, v15, v6
	v_add_f32_e32 v15, v9, v3
	v_add_f32_e32 v1, v1, v11
	v_sub_f32_e32 v27, v9, v3
	v_sub_f32_e32 v9, v7, v9
	;; [unrolled: 1-line block ×3, first 2 shown]
	v_add_f32_e32 v7, v15, v7
	v_mov_b32_e32 v15, v0
	v_fmac_f32_e32 v15, 0xbf955555, v10
	v_mov_b32_e32 v10, v1
	v_fmac_f32_e32 v10, 0xbf955555, v11
	v_mul_f32_e32 v11, 0x3f4a47b2, v12
	v_mul_f32_e32 v12, 0x3d64c772, v4
	s_mov_b32 s1, 0xbf3bfb3b
	v_fma_f32 v12, v24, s0, -v12
	v_fma_f32 v24, v24, s1, -v11
	v_fmac_f32_e32 v11, 0x3d64c772, v4
	v_mul_f32_e32 v4, 0x3f4a47b2, v13
	v_mul_f32_e32 v13, 0x3d64c772, v5
	v_fma_f32 v13, v14, s0, -v13
	v_fma_f32 v14, v14, s1, -v4
	v_fmac_f32_e32 v4, 0x3d64c772, v5
	v_mul_f32_e32 v5, 0xbf08b237, v25
	s_mov_b32 s0, 0x3f5ff5aa
	v_mul_f32_e32 v25, 0x3f5ff5aa, v2
	v_fma_f32 v28, v2, s0, -v5
	s_mov_b32 s1, 0xbeae86e6
	v_mul_f32_e32 v27, 0xbf08b237, v27
	v_mul_f32_e32 v2, 0x3f5ff5aa, v3
	v_fmac_f32_e32 v5, 0x3eae86e6, v8
	v_fma_f32 v25, v8, s1, -v25
	v_fma_f32 v8, v3, s0, -v27
	v_fmac_f32_e32 v27, 0x3eae86e6, v9
	v_fma_f32 v29, v9, s1, -v2
	v_add_f32_e32 v30, v11, v15
	v_add_f32_e32 v9, v12, v15
	;; [unrolled: 1-line block ×6, first 2 shown]
	v_fmac_f32_e32 v5, 0x3ee1c552, v6
	v_fmac_f32_e32 v27, 0x3ee1c552, v7
	;; [unrolled: 1-line block ×6, first 2 shown]
	v_sub_f32_e32 v2, v9, v8
	v_add_f32_e32 v3, v28, v4
	v_add_f32_e32 v6, v8, v9
	v_sub_f32_e32 v7, v4, v28
	v_add_f32_e32 v8, v29, v11
	v_sub_f32_e32 v9, v12, v25
	v_sub_f32_e32 v10, v11, v29
	v_add_f32_e32 v11, v25, v12
	v_add_f32_e32 v12, v30, v27
	v_sub_f32_e32 v13, v15, v5
	v_mad_u32_u24 v14, v16, 48, v17
	v_lshl_add_u32 v34, v23, 3, v33
	v_sub_f32_e32 v4, v30, v27
	v_add_f32_e32 v5, v5, v15
	s_barrier
	ds_write2_b64 v14, v[0:1], v[12:13] offset1:1
	ds_write2_b64 v14, v[8:9], v[2:3] offset0:2 offset1:3
	ds_write2_b64 v14, v[6:7], v[10:11] offset0:4 offset1:5
	ds_write_b64 v14, v[4:5] offset:48
	s_waitcnt lgkmcnt(0)
	s_barrier
	ds_read_b64 v[12:13], v32
	ds_read2_b64 v[0:3], v17 offset0:42 offset1:54
	v_lshl_add_u32 v35, v21, 3, v33
	ds_read_b64 v[6:7], v34
	ds_read_b64 v[8:9], v35
	ds_read_b64 v[10:11], v17 offset:528
	v_cmp_gt_u32_e64 s[0:1], 6, v16
                                        ; implicit-def: $vgpr15
	s_and_saveexec_b64 s[2:3], s[0:1]
	s_cbranch_execz .LBB0_14
; %bb.13:
	v_lshlrev_b32_e32 v4, 3, v20
	v_add3_u32 v4, 0, v4, v26
	ds_read_b64 v[4:5], v4
	ds_read_b64 v[14:15], v17 offset:624
.LBB0_14:
	s_or_b64 exec, exec, s[2:3]
	v_add_u32_e32 v24, -7, v16
	v_cmp_gt_u32_e64 s[2:3], 7, v16
	v_cndmask_b32_e64 v24, v24, v16, s[2:3]
	v_mov_b32_e32 v25, 0
	v_lshlrev_b64 v[27:28], 3, v[24:25]
	v_mov_b32_e32 v29, s9
	v_add_co_u32_e64 v27, s[2:3], s8, v27
	v_mov_b32_e32 v25, 37
	v_addc_co_u32_e64 v28, s[2:3], v29, v28, s[2:3]
	v_mul_lo_u16_sdwa v29, v21, v25 dst_sel:DWORD dst_unused:UNUSED_PAD src0_sel:BYTE_0 src1_sel:DWORD
	v_sub_u16_sdwa v30, v21, v29 dst_sel:DWORD dst_unused:UNUSED_PAD src0_sel:DWORD src1_sel:BYTE_1
	v_lshrrev_b16_e32 v30, 1, v30
	v_and_b32_e32 v30, 0x7f, v30
	v_add_u16_sdwa v29, v30, v29 dst_sel:DWORD dst_unused:UNUSED_PAD src0_sel:DWORD src1_sel:BYTE_1
	v_mul_lo_u16_sdwa v30, v23, v25 dst_sel:DWORD dst_unused:UNUSED_PAD src0_sel:BYTE_0 src1_sel:DWORD
	v_sub_u16_sdwa v31, v23, v30 dst_sel:DWORD dst_unused:UNUSED_PAD src0_sel:DWORD src1_sel:BYTE_1
	v_lshrrev_b16_e32 v31, 1, v31
	v_and_b32_e32 v31, 0x7f, v31
	v_mul_lo_u16_sdwa v25, v20, v25 dst_sel:DWORD dst_unused:UNUSED_PAD src0_sel:BYTE_0 src1_sel:DWORD
	v_add_u16_sdwa v30, v31, v30 dst_sel:DWORD dst_unused:UNUSED_PAD src0_sel:DWORD src1_sel:BYTE_1
	v_sub_u16_sdwa v31, v20, v25 dst_sel:DWORD dst_unused:UNUSED_PAD src0_sel:DWORD src1_sel:BYTE_1
	v_lshrrev_b16_e32 v31, 1, v31
	v_and_b32_e32 v31, 0x7f, v31
	v_lshrrev_b16_e32 v40, 2, v29
	v_add_u16_sdwa v25, v31, v25 dst_sel:DWORD dst_unused:UNUSED_PAD src0_sel:DWORD src1_sel:BYTE_1
	v_mul_lo_u16_e32 v29, 7, v40
	v_sub_u16_e32 v31, v21, v29
	global_load_dwordx2 v[28:29], v[27:28], off
	v_lshrrev_b16_e32 v42, 2, v30
	v_lshrrev_b16_e32 v25, 2, v25
	v_mul_lo_u16_e32 v30, 7, v42
	v_mul_lo_u16_e32 v25, 7, v25
	v_mov_b32_e32 v27, 3
	v_sub_u16_e32 v30, v23, v30
	v_sub_u16_e32 v25, v20, v25
	v_lshlrev_b32_sdwa v41, v27, v31 dst_sel:DWORD dst_unused:UNUSED_PAD src0_sel:DWORD src1_sel:BYTE_0
	v_lshlrev_b32_sdwa v43, v27, v30 dst_sel:DWORD dst_unused:UNUSED_PAD src0_sel:DWORD src1_sel:BYTE_0
	;; [unrolled: 1-line block ×3, first 2 shown]
	global_load_dwordx2 v[30:31], v41, s[8:9]
	global_load_dwordx2 v[36:37], v43, s[8:9]
	;; [unrolled: 1-line block ×3, first 2 shown]
	v_mov_b32_e32 v25, 0x70
	v_cmp_lt_u32_e64 s[2:3], 6, v16
	v_cndmask_b32_e64 v25, 0, v25, s[2:3]
	s_movk_i32 s4, 0x70
	v_lshlrev_b32_e32 v24, 3, v24
	v_add_u32_e32 v25, 0, v25
	v_add3_u32 v24, v25, v24, v26
	v_mad_u32_u24 v25, v40, s4, 0
	v_add3_u32 v41, v25, v41, v26
	s_waitcnt vmcnt(0) lgkmcnt(0)
	s_barrier
	v_mad_u32_u24 v40, v42, s4, 0
	v_add3_u32 v40, v40, v43, v26
	v_mul_f32_e32 v25, v29, v1
	v_mul_f32_e32 v29, v29, v0
	v_fma_f32 v0, v28, v0, -v25
	v_fmac_f32_e32 v29, v28, v1
	v_sub_f32_e32 v0, v12, v0
	v_sub_f32_e32 v1, v13, v29
	v_fma_f32 v12, v12, 2.0, -v0
	v_fma_f32 v13, v13, 2.0, -v1
	ds_write2_b64 v24, v[12:13], v[0:1] offset1:7
	v_mul_f32_e32 v0, v31, v3
	v_mul_f32_e32 v1, v31, v2
	;; [unrolled: 1-line block ×6, first 2 shown]
	v_fma_f32 v0, v30, v2, -v0
	v_fmac_f32_e32 v1, v30, v3
	v_fma_f32 v10, v36, v10, -v12
	v_fma_f32 v12, v14, v38, -v24
	v_fmac_f32_e32 v25, v15, v38
	v_fmac_f32_e32 v13, v36, v11
	v_sub_f32_e32 v2, v8, v0
	v_sub_f32_e32 v3, v9, v1
	;; [unrolled: 1-line block ×6, first 2 shown]
	v_fma_f32 v8, v8, 2.0, -v2
	v_fma_f32 v9, v9, 2.0, -v3
	;; [unrolled: 1-line block ×6, first 2 shown]
	ds_write2_b64 v41, v[8:9], v[2:3] offset1:7
	ds_write2_b64 v40, v[6:7], v[10:11] offset1:7
	s_and_saveexec_b64 s[2:3], s[0:1]
	s_cbranch_execz .LBB0_16
; %bb.15:
	v_add3_u32 v2, 0, v27, v26
	ds_write2_b64 v2, v[24:25], v[0:1] offset0:70 offset1:77
.LBB0_16:
	s_or_b64 exec, exec, s[2:3]
	s_waitcnt lgkmcnt(0)
	s_barrier
	ds_read2_b64 v[12:15], v17 offset0:14 offset1:28
	ds_read2_b64 v[8:11], v17 offset0:42 offset1:56
	ds_read_b64 v[28:29], v32
	ds_read_b64 v[30:31], v17 offset:560
	v_cmp_gt_u32_e64 s[2:3], 2, v16
                                        ; implicit-def: $vgpr27
                                        ; implicit-def: $vgpr7
	s_and_saveexec_b64 s[4:5], s[2:3]
	s_cbranch_execz .LBB0_18
; %bb.17:
	ds_read2_b64 v[0:3], v17 offset0:26 offset1:40
	ds_read2_b64 v[4:7], v17 offset0:54 offset1:68
	ds_read_b64 v[24:25], v35
	ds_read_b64 v[26:27], v17 offset:656
.LBB0_18:
	s_or_b64 exec, exec, s[4:5]
	v_mul_u32_u24_e32 v36, 5, v16
	v_lshlrev_b32_e32 v46, 3, v36
	global_load_dwordx4 v[36:39], v46, s[8:9] offset:56
	global_load_dwordx4 v[40:43], v46, s[8:9] offset:72
	global_load_dwordx2 v[44:45], v46, s[8:9] offset:88
	s_waitcnt vmcnt(0) lgkmcnt(0)
	s_barrier
	v_mul_f32_e32 v46, v37, v13
	v_mul_f32_e32 v37, v37, v12
	;; [unrolled: 1-line block ×10, first 2 shown]
	v_fmac_f32_e32 v37, v36, v13
	v_fma_f32 v13, v38, v14, -v47
	v_fmac_f32_e32 v39, v38, v15
	v_fma_f32 v8, v40, v8, -v48
	;; [unrolled: 2-line block ×5, first 2 shown]
	v_add_f32_e32 v14, v13, v9
	v_sub_f32_e32 v15, v39, v43
	v_add_f32_e32 v30, v29, v39
	v_add_f32_e32 v31, v39, v43
	;; [unrolled: 1-line block ×3, first 2 shown]
	v_sub_f32_e32 v39, v41, v45
	v_add_f32_e32 v40, v37, v41
	v_add_f32_e32 v41, v41, v45
	;; [unrolled: 1-line block ×4, first 2 shown]
	v_sub_f32_e32 v42, v8, v10
	v_fma_f32 v14, -0.5, v14, v28
	v_fmac_f32_e32 v12, -0.5, v38
	v_fmac_f32_e32 v37, -0.5, v41
	v_add_f32_e32 v11, v11, v9
	v_add_f32_e32 v28, v30, v43
	v_fmac_f32_e32 v29, -0.5, v31
	v_add_f32_e32 v10, v36, v10
	v_add_f32_e32 v30, v40, v45
	v_mov_b32_e32 v31, v14
	v_mov_b32_e32 v38, v12
	v_fmac_f32_e32 v12, 0xbf5db3d7, v39
	v_mov_b32_e32 v40, v37
	v_fmac_f32_e32 v37, 0x3f5db3d7, v42
	v_sub_f32_e32 v13, v13, v9
	v_fmac_f32_e32 v14, 0xbf5db3d7, v15
	v_add_f32_e32 v8, v11, v10
	v_add_f32_e32 v9, v28, v30
	v_sub_f32_e32 v10, v11, v10
	v_sub_f32_e32 v11, v28, v30
	v_fmac_f32_e32 v31, 0x3f5db3d7, v15
	v_fmac_f32_e32 v38, 0x3f5db3d7, v39
	;; [unrolled: 1-line block ×3, first 2 shown]
	v_mul_f32_e32 v15, -0.5, v12
	v_mul_f32_e32 v28, -0.5, v37
	v_mov_b32_e32 v36, v29
	v_fmac_f32_e32 v29, 0x3f5db3d7, v13
	v_mul_f32_e32 v30, 0x3f5db3d7, v40
	v_fmac_f32_e32 v15, 0x3f5db3d7, v37
	v_mul_f32_e32 v37, 0xbf5db3d7, v38
	v_fmac_f32_e32 v28, 0xbf5db3d7, v12
	v_fmac_f32_e32 v36, 0xbf5db3d7, v13
	v_fmac_f32_e32 v30, 0.5, v38
	v_add_f32_e32 v12, v14, v15
	v_fmac_f32_e32 v37, 0.5, v40
	v_add_f32_e32 v13, v29, v28
	v_sub_f32_e32 v14, v14, v15
	v_sub_f32_e32 v15, v29, v28
	v_add_f32_e32 v28, v31, v30
	v_add_f32_e32 v29, v36, v37
	v_sub_f32_e32 v30, v31, v30
	v_sub_f32_e32 v31, v36, v37
	ds_write2_b64 v17, v[12:13], v[10:11] offset0:28 offset1:42
	ds_write2_b64 v17, v[8:9], v[28:29] offset1:14
	ds_write2_b64 v17, v[30:31], v[14:15] offset0:56 offset1:70
	s_and_saveexec_b64 s[4:5], s[2:3]
	s_cbranch_execz .LBB0_20
; %bb.19:
	v_add_u32_e32 v8, -2, v16
	v_cndmask_b32_e64 v8, v8, v21, s[2:3]
	v_mul_i32_i24_e32 v8, 5, v8
	v_mov_b32_e32 v9, 0
	v_lshlrev_b64 v[8:9], 3, v[8:9]
	v_mov_b32_e32 v10, s9
	v_add_co_u32_e64 v28, s[2:3], s8, v8
	v_addc_co_u32_e64 v29, s[2:3], v10, v9, s[2:3]
	global_load_dwordx4 v[8:11], v[28:29], off offset:56
	global_load_dwordx4 v[12:15], v[28:29], off offset:72
	global_load_dwordx2 v[30:31], v[28:29], off offset:88
	s_waitcnt vmcnt(2)
	v_mul_f32_e32 v28, v3, v11
	v_mul_f32_e32 v11, v2, v11
	s_waitcnt vmcnt(1)
	v_mul_f32_e32 v37, v5, v13
	s_waitcnt vmcnt(0)
	v_mul_f32_e32 v38, v27, v31
	v_mul_f32_e32 v13, v4, v13
	;; [unrolled: 1-line block ×7, first 2 shown]
	v_fmac_f32_e32 v11, v3, v10
	v_fma_f32 v3, v4, v12, -v37
	v_fma_f32 v4, v26, v30, -v38
	v_fmac_f32_e32 v13, v5, v12
	v_fmac_f32_e32 v31, v27, v30
	v_fma_f32 v2, v2, v10, -v28
	v_fma_f32 v6, v6, v14, -v29
	v_fmac_f32_e32 v15, v7, v14
	v_fma_f32 v0, v0, v8, -v36
	v_fmac_f32_e32 v9, v1, v8
	v_add_f32_e32 v7, v3, v4
	v_add_f32_e32 v12, v13, v31
	v_sub_f32_e32 v5, v2, v6
	v_sub_f32_e32 v8, v13, v31
	;; [unrolled: 1-line block ×3, first 2 shown]
	v_add_f32_e32 v14, v25, v11
	v_add_f32_e32 v13, v9, v13
	;; [unrolled: 1-line block ×4, first 2 shown]
	v_fma_f32 v7, -0.5, v7, v0
	v_fma_f32 v9, -0.5, v12, v9
	v_add_f32_e32 v1, v11, v15
	v_add_f32_e32 v12, v14, v15
	v_fma_f32 v14, -0.5, v26, v24
	v_add_f32_e32 v2, v2, v6
	v_mov_b32_e32 v6, v7
	v_mov_b32_e32 v24, v9
	v_fmac_f32_e32 v9, 0xbf5db3d7, v10
	v_fmac_f32_e32 v7, 0x3f5db3d7, v8
	v_sub_f32_e32 v11, v11, v15
	v_add_f32_e32 v3, v0, v3
	v_fma_f32 v25, -0.5, v1, v25
	v_add_f32_e32 v13, v13, v31
	v_mov_b32_e32 v26, v14
	v_fmac_f32_e32 v6, 0xbf5db3d7, v8
	v_fmac_f32_e32 v24, 0x3f5db3d7, v10
	v_mul_f32_e32 v8, 0xbf5db3d7, v7
	v_mul_f32_e32 v10, 0x3f5db3d7, v9
	v_add_f32_e32 v4, v3, v4
	v_mov_b32_e32 v15, v25
	v_fmac_f32_e32 v25, 0xbf5db3d7, v5
	v_sub_f32_e32 v1, v12, v13
	v_fmac_f32_e32 v14, 0x3f5db3d7, v11
	v_add_f32_e32 v3, v12, v13
	v_fmac_f32_e32 v26, 0xbf5db3d7, v11
	v_mul_f32_e32 v11, -0.5, v24
	v_fmac_f32_e32 v8, 0.5, v9
	v_mul_f32_e32 v12, -0.5, v6
	v_fmac_f32_e32 v10, 0.5, v7
	v_sub_f32_e32 v0, v2, v4
	v_add_f32_e32 v2, v2, v4
	v_fmac_f32_e32 v15, 0x3f5db3d7, v5
	v_fmac_f32_e32 v11, 0xbf5db3d7, v6
	v_fmac_f32_e32 v12, 0x3f5db3d7, v24
	v_add_f32_e32 v7, v25, v8
	v_add_f32_e32 v6, v14, v10
	v_sub_f32_e32 v5, v25, v8
	v_sub_f32_e32 v4, v14, v10
	;; [unrolled: 1-line block ×4, first 2 shown]
	v_add_f32_e32 v11, v15, v11
	v_add_f32_e32 v10, v26, v12
	ds_write2_b64 v17, v[2:3], v[6:7] offset0:12 offset1:26
	ds_write2_b64 v17, v[10:11], v[0:1] offset0:40 offset1:54
	;; [unrolled: 1-line block ×3, first 2 shown]
.LBB0_20:
	s_or_b64 exec, exec, s[4:5]
	s_waitcnt lgkmcnt(0)
	s_barrier
	ds_read_b64 v[2:3], v32
	v_sub_u32_e32 v4, v33, v22
	v_cmp_ne_u32_e64 s[2:3], 0, v16
                                        ; implicit-def: $vgpr1
                                        ; implicit-def: $vgpr5
	s_and_saveexec_b64 s[4:5], s[2:3]
	s_xor_b64 s[4:5], exec, s[4:5]
	s_cbranch_execz .LBB0_22
; %bb.21:
	v_mov_b32_e32 v17, 0
	v_lshlrev_b64 v[0:1], 3, v[16:17]
	v_mov_b32_e32 v5, s9
	v_add_co_u32_e64 v0, s[2:3], s8, v0
	v_addc_co_u32_e64 v1, s[2:3], v5, v1, s[2:3]
	global_load_dwordx2 v[6:7], v[0:1], off offset:616
	ds_read_b64 v[0:1], v4 offset:672
	s_waitcnt lgkmcnt(0)
	v_add_f32_e32 v8, v0, v2
	v_sub_f32_e32 v0, v2, v0
	v_add_f32_e32 v5, v1, v3
	v_sub_f32_e32 v1, v3, v1
	v_mul_f32_e32 v3, 0.5, v0
	v_mul_f32_e32 v0, 0.5, v1
	;; [unrolled: 1-line block ×3, first 2 shown]
	s_waitcnt vmcnt(0)
	v_mul_f32_e32 v1, v7, v3
	v_fma_f32 v9, 0.5, v8, v1
	v_fma_f32 v5, v2, v7, v0
	v_fma_f32 v7, v2, v7, -v0
	v_fma_f32 v0, v8, 0.5, -v1
	v_fmac_f32_e32 v9, v6, v2
	v_fma_f32 v5, -v6, v3, v5
	v_fma_f32 v0, -v6, v2, v0
	ds_write_b32 v32, v9
	v_fma_f32 v1, -v6, v3, v7
                                        ; implicit-def: $vgpr2_vgpr3
.LBB0_22:
	s_andn2_saveexec_b64 s[2:3], s[4:5]
	s_cbranch_execz .LBB0_24
; %bb.23:
	ds_read_b32 v1, v33 offset:340
	v_mov_b32_e32 v5, 0
	s_waitcnt lgkmcnt(1)
	v_add_f32_e32 v6, v2, v3
	v_sub_f32_e32 v0, v2, v3
	ds_write_b32 v32, v6
	s_waitcnt lgkmcnt(1)
	v_xor_b32_e32 v1, 0x80000000, v1
	ds_write_b32 v33, v1 offset:340
	v_mov_b32_e32 v1, v5
.LBB0_24:
	s_or_b64 exec, exec, s[2:3]
	v_mov_b32_e32 v22, 0
	s_waitcnt lgkmcnt(0)
	v_lshlrev_b64 v[2:3], 3, v[21:22]
	v_mov_b32_e32 v8, s9
	v_add_co_u32_e64 v2, s[2:3], s8, v2
	v_addc_co_u32_e64 v3, s[2:3], v8, v3, s[2:3]
	global_load_dwordx2 v[2:3], v[2:3], off offset:616
	v_mov_b32_e32 v24, v22
	v_lshlrev_b64 v[6:7], 3, v[23:24]
	v_add_co_u32_e64 v6, s[2:3], s8, v6
	v_addc_co_u32_e64 v7, s[2:3], v8, v7, s[2:3]
	global_load_dwordx2 v[6:7], v[6:7], off offset:616
	ds_write_b32 v32, v5 offset:4
	ds_write_b64 v4, v[0:1] offset:672
	ds_read_b64 v[0:1], v35
	ds_read_b64 v[8:9], v4 offset:576
	s_waitcnt lgkmcnt(0)
	v_add_f32_e32 v5, v0, v8
	v_sub_f32_e32 v0, v0, v8
	v_add_f32_e32 v10, v1, v9
	v_sub_f32_e32 v1, v1, v9
	v_mul_f32_e32 v9, 0.5, v0
	v_mul_f32_e32 v8, 0.5, v10
	;; [unrolled: 1-line block ×3, first 2 shown]
	s_waitcnt vmcnt(1)
	v_mul_f32_e32 v10, v3, v9
	v_fma_f32 v1, v8, v3, v0
	v_fma_f32 v3, v8, v3, -v0
	v_fma_f32 v0, 0.5, v5, v10
	v_fma_f32 v1, -v2, v9, v1
	v_fma_f32 v5, v5, 0.5, -v10
	v_fmac_f32_e32 v0, v2, v8
	v_fma_f32 v3, -v2, v9, v3
	v_fma_f32 v2, -v2, v8, v5
	ds_write_b64 v35, v[0:1]
	ds_write_b64 v4, v[2:3] offset:576
	ds_read_b64 v[0:1], v34
	ds_read_b64 v[2:3], v4 offset:480
	s_waitcnt lgkmcnt(0)
	v_add_f32_e32 v5, v0, v2
	v_sub_f32_e32 v0, v0, v2
	v_add_f32_e32 v8, v1, v3
	v_sub_f32_e32 v1, v1, v3
	v_mul_f32_e32 v3, 0.5, v0
	v_mul_f32_e32 v2, 0.5, v8
	;; [unrolled: 1-line block ×3, first 2 shown]
	s_waitcnt vmcnt(0)
	v_mul_f32_e32 v8, v7, v3
	v_fma_f32 v1, v2, v7, v0
	v_fma_f32 v7, v2, v7, -v0
	v_fma_f32 v0, 0.5, v5, v8
	v_fma_f32 v1, -v6, v3, v1
	v_fma_f32 v5, v5, 0.5, -v8
	v_fmac_f32_e32 v0, v6, v2
	v_fma_f32 v3, -v6, v3, v7
	v_fma_f32 v2, -v6, v2, v5
	ds_write_b64 v34, v[0:1]
	ds_write_b64 v4, v[2:3] offset:480
	s_and_saveexec_b64 s[2:3], s[0:1]
	s_cbranch_execz .LBB0_26
; %bb.25:
	v_mov_b32_e32 v21, v22
	v_lshlrev_b64 v[0:1], 3, v[20:21]
	v_mov_b32_e32 v2, s9
	v_add_co_u32_e64 v0, s[0:1], s8, v0
	v_addc_co_u32_e64 v1, s[0:1], v2, v1, s[0:1]
	global_load_dwordx2 v[0:1], v[0:1], off offset:616
	v_lshl_add_u32 v7, v20, 3, v33
	ds_read_b64 v[2:3], v7
	ds_read_b64 v[5:6], v4 offset:384
	s_waitcnt lgkmcnt(0)
	v_add_f32_e32 v8, v2, v5
	v_sub_f32_e32 v2, v2, v5
	v_add_f32_e32 v9, v3, v6
	v_sub_f32_e32 v3, v3, v6
	v_mul_f32_e32 v6, 0.5, v2
	v_mul_f32_e32 v5, 0.5, v9
	;; [unrolled: 1-line block ×3, first 2 shown]
	s_waitcnt vmcnt(0)
	v_mul_f32_e32 v3, v1, v6
	v_fma_f32 v9, v5, v1, v2
	v_fma_f32 v10, v5, v1, -v2
	v_fma_f32 v1, 0.5, v8, v3
	v_fma_f32 v2, -v0, v6, v9
	v_fma_f32 v3, v8, 0.5, -v3
	v_fmac_f32_e32 v1, v0, v5
	v_fma_f32 v6, -v0, v6, v10
	v_fma_f32 v5, -v0, v5, v3
	ds_write_b64 v7, v[1:2]
	ds_write_b64 v4, v[5:6] offset:384
.LBB0_26:
	s_or_b64 exec, exec, s[2:3]
	s_waitcnt lgkmcnt(0)
	s_barrier
	s_and_saveexec_b64 s[0:1], vcc
	s_cbranch_execz .LBB0_29
; %bb.27:
	v_mov_b32_e32 v17, 0
	v_mov_b32_e32 v1, s13
	v_add_co_u32_e32 v0, vcc, s12, v18
	v_lshlrev_b64 v[6:7], 3, v[16:17]
	v_addc_co_u32_e32 v1, vcc, v1, v19, vcc
	ds_read2_b64 v[2:5], v32 offset1:12
	v_add_co_u32_e32 v14, vcc, v0, v6
	v_addc_co_u32_e32 v15, vcc, v1, v7, vcc
	ds_read2_b64 v[6:9], v32 offset0:24 offset1:36
	ds_read2_b64 v[10:13], v32 offset0:48 offset1:60
	s_waitcnt lgkmcnt(2)
	global_store_dwordx2 v[14:15], v[2:3], off
	ds_read_b64 v[2:3], v32 offset:576
	v_cmp_eq_u32_e32 vcc, 11, v16
	global_store_dwordx2 v[14:15], v[4:5], off offset:96
	s_waitcnt lgkmcnt(2)
	global_store_dwordx2 v[14:15], v[6:7], off offset:192
	global_store_dwordx2 v[14:15], v[8:9], off offset:288
	s_waitcnt lgkmcnt(1)
	global_store_dwordx2 v[14:15], v[10:11], off offset:384
	;; [unrolled: 3-line block ×3, first 2 shown]
	s_and_b64 exec, exec, vcc
	s_cbranch_execz .LBB0_29
; %bb.28:
	ds_read_b64 v[2:3], v32 offset:584
	s_waitcnt lgkmcnt(0)
	global_store_dwordx2 v[0:1], v[2:3], off offset:672
.LBB0_29:
	s_endpgm
	.section	.rodata,"a",@progbits
	.p2align	6, 0x0
	.amdhsa_kernel fft_rtc_fwd_len84_factors_7_2_6_wgs_120_tpt_12_halfLds_sp_ip_CI_unitstride_sbrr_R2C_dirReg
		.amdhsa_group_segment_fixed_size 0
		.amdhsa_private_segment_fixed_size 0
		.amdhsa_kernarg_size 88
		.amdhsa_user_sgpr_count 6
		.amdhsa_user_sgpr_private_segment_buffer 1
		.amdhsa_user_sgpr_dispatch_ptr 0
		.amdhsa_user_sgpr_queue_ptr 0
		.amdhsa_user_sgpr_kernarg_segment_ptr 1
		.amdhsa_user_sgpr_dispatch_id 0
		.amdhsa_user_sgpr_flat_scratch_init 0
		.amdhsa_user_sgpr_private_segment_size 0
		.amdhsa_uses_dynamic_stack 0
		.amdhsa_system_sgpr_private_segment_wavefront_offset 0
		.amdhsa_system_sgpr_workgroup_id_x 1
		.amdhsa_system_sgpr_workgroup_id_y 0
		.amdhsa_system_sgpr_workgroup_id_z 0
		.amdhsa_system_sgpr_workgroup_info 0
		.amdhsa_system_vgpr_workitem_id 0
		.amdhsa_next_free_vgpr 51
		.amdhsa_next_free_sgpr 22
		.amdhsa_reserve_vcc 1
		.amdhsa_reserve_flat_scratch 0
		.amdhsa_float_round_mode_32 0
		.amdhsa_float_round_mode_16_64 0
		.amdhsa_float_denorm_mode_32 3
		.amdhsa_float_denorm_mode_16_64 3
		.amdhsa_dx10_clamp 1
		.amdhsa_ieee_mode 1
		.amdhsa_fp16_overflow 0
		.amdhsa_exception_fp_ieee_invalid_op 0
		.amdhsa_exception_fp_denorm_src 0
		.amdhsa_exception_fp_ieee_div_zero 0
		.amdhsa_exception_fp_ieee_overflow 0
		.amdhsa_exception_fp_ieee_underflow 0
		.amdhsa_exception_fp_ieee_inexact 0
		.amdhsa_exception_int_div_zero 0
	.end_amdhsa_kernel
	.text
.Lfunc_end0:
	.size	fft_rtc_fwd_len84_factors_7_2_6_wgs_120_tpt_12_halfLds_sp_ip_CI_unitstride_sbrr_R2C_dirReg, .Lfunc_end0-fft_rtc_fwd_len84_factors_7_2_6_wgs_120_tpt_12_halfLds_sp_ip_CI_unitstride_sbrr_R2C_dirReg
                                        ; -- End function
	.section	.AMDGPU.csdata,"",@progbits
; Kernel info:
; codeLenInByte = 4672
; NumSgprs: 26
; NumVgprs: 51
; ScratchSize: 0
; MemoryBound: 0
; FloatMode: 240
; IeeeMode: 1
; LDSByteSize: 0 bytes/workgroup (compile time only)
; SGPRBlocks: 3
; VGPRBlocks: 12
; NumSGPRsForWavesPerEU: 26
; NumVGPRsForWavesPerEU: 51
; Occupancy: 4
; WaveLimiterHint : 1
; COMPUTE_PGM_RSRC2:SCRATCH_EN: 0
; COMPUTE_PGM_RSRC2:USER_SGPR: 6
; COMPUTE_PGM_RSRC2:TRAP_HANDLER: 0
; COMPUTE_PGM_RSRC2:TGID_X_EN: 1
; COMPUTE_PGM_RSRC2:TGID_Y_EN: 0
; COMPUTE_PGM_RSRC2:TGID_Z_EN: 0
; COMPUTE_PGM_RSRC2:TIDIG_COMP_CNT: 0
	.type	__hip_cuid_b0e1be4f6072bb64,@object ; @__hip_cuid_b0e1be4f6072bb64
	.section	.bss,"aw",@nobits
	.globl	__hip_cuid_b0e1be4f6072bb64
__hip_cuid_b0e1be4f6072bb64:
	.byte	0                               ; 0x0
	.size	__hip_cuid_b0e1be4f6072bb64, 1

	.ident	"AMD clang version 19.0.0git (https://github.com/RadeonOpenCompute/llvm-project roc-6.4.0 25133 c7fe45cf4b819c5991fe208aaa96edf142730f1d)"
	.section	".note.GNU-stack","",@progbits
	.addrsig
	.addrsig_sym __hip_cuid_b0e1be4f6072bb64
	.amdgpu_metadata
---
amdhsa.kernels:
  - .args:
      - .actual_access:  read_only
        .address_space:  global
        .offset:         0
        .size:           8
        .value_kind:     global_buffer
      - .offset:         8
        .size:           8
        .value_kind:     by_value
      - .actual_access:  read_only
        .address_space:  global
        .offset:         16
        .size:           8
        .value_kind:     global_buffer
      - .actual_access:  read_only
        .address_space:  global
        .offset:         24
        .size:           8
        .value_kind:     global_buffer
      - .offset:         32
        .size:           8
        .value_kind:     by_value
      - .actual_access:  read_only
        .address_space:  global
        .offset:         40
        .size:           8
        .value_kind:     global_buffer
      - .actual_access:  read_only
        .address_space:  global
        .offset:         48
        .size:           8
        .value_kind:     global_buffer
      - .offset:         56
        .size:           4
        .value_kind:     by_value
      - .actual_access:  read_only
        .address_space:  global
        .offset:         64
        .size:           8
        .value_kind:     global_buffer
      - .actual_access:  read_only
        .address_space:  global
        .offset:         72
        .size:           8
        .value_kind:     global_buffer
      - .address_space:  global
        .offset:         80
        .size:           8
        .value_kind:     global_buffer
    .group_segment_fixed_size: 0
    .kernarg_segment_align: 8
    .kernarg_segment_size: 88
    .language:       OpenCL C
    .language_version:
      - 2
      - 0
    .max_flat_workgroup_size: 120
    .name:           fft_rtc_fwd_len84_factors_7_2_6_wgs_120_tpt_12_halfLds_sp_ip_CI_unitstride_sbrr_R2C_dirReg
    .private_segment_fixed_size: 0
    .sgpr_count:     26
    .sgpr_spill_count: 0
    .symbol:         fft_rtc_fwd_len84_factors_7_2_6_wgs_120_tpt_12_halfLds_sp_ip_CI_unitstride_sbrr_R2C_dirReg.kd
    .uniform_work_group_size: 1
    .uses_dynamic_stack: false
    .vgpr_count:     51
    .vgpr_spill_count: 0
    .wavefront_size: 64
amdhsa.target:   amdgcn-amd-amdhsa--gfx906
amdhsa.version:
  - 1
  - 2
...

	.end_amdgpu_metadata
